;; amdgpu-corpus repo=ROCm/rocFFT kind=compiled arch=gfx1030 opt=O3
	.text
	.amdgcn_target "amdgcn-amd-amdhsa--gfx1030"
	.amdhsa_code_object_version 6
	.protected	fft_rtc_fwd_len462_factors_11_6_7_wgs_231_tpt_77_dp_ip_CI_unitstride_sbrr_C2R_dirReg ; -- Begin function fft_rtc_fwd_len462_factors_11_6_7_wgs_231_tpt_77_dp_ip_CI_unitstride_sbrr_C2R_dirReg
	.globl	fft_rtc_fwd_len462_factors_11_6_7_wgs_231_tpt_77_dp_ip_CI_unitstride_sbrr_C2R_dirReg
	.p2align	8
	.type	fft_rtc_fwd_len462_factors_11_6_7_wgs_231_tpt_77_dp_ip_CI_unitstride_sbrr_C2R_dirReg,@function
fft_rtc_fwd_len462_factors_11_6_7_wgs_231_tpt_77_dp_ip_CI_unitstride_sbrr_C2R_dirReg: ; @fft_rtc_fwd_len462_factors_11_6_7_wgs_231_tpt_77_dp_ip_CI_unitstride_sbrr_C2R_dirReg
; %bb.0:
	s_load_dwordx4 s[8:11], s[4:5], 0x0
	v_mul_u32_u24_e32 v1, 0x354, v0
	s_clause 0x1
	s_load_dwordx2 s[2:3], s[4:5], 0x50
	s_load_dwordx2 s[12:13], s[4:5], 0x18
	v_mov_b32_e32 v5, 0
	v_mov_b32_e32 v3, 0
	;; [unrolled: 1-line block ×3, first 2 shown]
	v_lshrrev_b32_e32 v1, 16, v1
	v_mad_u64_u32 v[1:2], null, s6, 3, v[1:2]
	v_mov_b32_e32 v2, v5
	v_mov_b32_e32 v10, v2
	;; [unrolled: 1-line block ×3, first 2 shown]
	s_waitcnt lgkmcnt(0)
	v_cmp_lt_u64_e64 s0, s[10:11], 2
	s_and_b32 vcc_lo, exec_lo, s0
	s_cbranch_vccnz .LBB0_8
; %bb.1:
	s_load_dwordx2 s[0:1], s[4:5], 0x10
	v_mov_b32_e32 v3, 0
	v_mov_b32_e32 v8, v2
	s_add_u32 s6, s12, 8
	v_mov_b32_e32 v4, 0
	v_mov_b32_e32 v7, v1
	s_addc_u32 s7, s13, 0
	s_mov_b64 s[16:17], 1
	s_waitcnt lgkmcnt(0)
	s_add_u32 s14, s0, 8
	s_addc_u32 s15, s1, 0
.LBB0_2:                                ; =>This Inner Loop Header: Depth=1
	s_load_dwordx2 s[18:19], s[14:15], 0x0
                                        ; implicit-def: $vgpr9_vgpr10
	s_mov_b32 s0, exec_lo
	s_waitcnt lgkmcnt(0)
	v_or_b32_e32 v6, s19, v8
	v_cmpx_ne_u64_e32 0, v[5:6]
	s_xor_b32 s1, exec_lo, s0
	s_cbranch_execz .LBB0_4
; %bb.3:                                ;   in Loop: Header=BB0_2 Depth=1
	v_cvt_f32_u32_e32 v2, s18
	v_cvt_f32_u32_e32 v6, s19
	s_sub_u32 s0, 0, s18
	s_subb_u32 s20, 0, s19
	v_fmac_f32_e32 v2, 0x4f800000, v6
	v_rcp_f32_e32 v2, v2
	v_mul_f32_e32 v2, 0x5f7ffffc, v2
	v_mul_f32_e32 v6, 0x2f800000, v2
	v_trunc_f32_e32 v6, v6
	v_fmac_f32_e32 v2, 0xcf800000, v6
	v_cvt_u32_f32_e32 v6, v6
	v_cvt_u32_f32_e32 v2, v2
	v_mul_lo_u32 v9, s0, v6
	v_mul_hi_u32 v10, s0, v2
	v_mul_lo_u32 v11, s20, v2
	v_add_nc_u32_e32 v9, v10, v9
	v_mul_lo_u32 v10, s0, v2
	v_add_nc_u32_e32 v9, v9, v11
	v_mul_hi_u32 v11, v2, v10
	v_mul_lo_u32 v12, v2, v9
	v_mul_hi_u32 v13, v2, v9
	v_mul_hi_u32 v14, v6, v10
	v_mul_lo_u32 v10, v6, v10
	v_mul_hi_u32 v15, v6, v9
	v_mul_lo_u32 v9, v6, v9
	v_add_co_u32 v11, vcc_lo, v11, v12
	v_add_co_ci_u32_e32 v12, vcc_lo, 0, v13, vcc_lo
	v_add_co_u32 v10, vcc_lo, v11, v10
	v_add_co_ci_u32_e32 v10, vcc_lo, v12, v14, vcc_lo
	v_add_co_ci_u32_e32 v11, vcc_lo, 0, v15, vcc_lo
	v_add_co_u32 v9, vcc_lo, v10, v9
	v_add_co_ci_u32_e32 v10, vcc_lo, 0, v11, vcc_lo
	v_add_co_u32 v2, vcc_lo, v2, v9
	v_add_co_ci_u32_e32 v6, vcc_lo, v6, v10, vcc_lo
	v_mul_hi_u32 v9, s0, v2
	v_mul_lo_u32 v11, s20, v2
	v_mul_lo_u32 v10, s0, v6
	v_add_nc_u32_e32 v9, v9, v10
	v_mul_lo_u32 v10, s0, v2
	v_add_nc_u32_e32 v9, v9, v11
	v_mul_hi_u32 v11, v2, v10
	v_mul_lo_u32 v12, v2, v9
	v_mul_hi_u32 v13, v2, v9
	v_mul_hi_u32 v14, v6, v10
	v_mul_lo_u32 v10, v6, v10
	v_mul_hi_u32 v15, v6, v9
	v_mul_lo_u32 v9, v6, v9
	v_add_co_u32 v11, vcc_lo, v11, v12
	v_add_co_ci_u32_e32 v12, vcc_lo, 0, v13, vcc_lo
	v_add_co_u32 v10, vcc_lo, v11, v10
	v_add_co_ci_u32_e32 v10, vcc_lo, v12, v14, vcc_lo
	v_add_co_ci_u32_e32 v11, vcc_lo, 0, v15, vcc_lo
	v_add_co_u32 v9, vcc_lo, v10, v9
	v_add_co_ci_u32_e32 v10, vcc_lo, 0, v11, vcc_lo
	v_add_co_u32 v2, vcc_lo, v2, v9
	v_add_co_ci_u32_e32 v6, vcc_lo, v6, v10, vcc_lo
	v_mul_hi_u32 v15, v7, v2
	v_mad_u64_u32 v[11:12], null, v8, v2, 0
	v_mad_u64_u32 v[9:10], null, v7, v6, 0
	v_mad_u64_u32 v[13:14], null, v8, v6, 0
	v_add_co_u32 v2, vcc_lo, v15, v9
	v_add_co_ci_u32_e32 v6, vcc_lo, 0, v10, vcc_lo
	v_add_co_u32 v2, vcc_lo, v2, v11
	v_add_co_ci_u32_e32 v2, vcc_lo, v6, v12, vcc_lo
	v_add_co_ci_u32_e32 v6, vcc_lo, 0, v14, vcc_lo
	v_add_co_u32 v2, vcc_lo, v2, v13
	v_add_co_ci_u32_e32 v6, vcc_lo, 0, v6, vcc_lo
	v_mul_lo_u32 v11, s19, v2
	v_mad_u64_u32 v[9:10], null, s18, v2, 0
	v_mul_lo_u32 v12, s18, v6
	v_sub_co_u32 v9, vcc_lo, v7, v9
	v_add3_u32 v10, v10, v12, v11
	v_sub_nc_u32_e32 v11, v8, v10
	v_subrev_co_ci_u32_e64 v11, s0, s19, v11, vcc_lo
	v_add_co_u32 v12, s0, v2, 2
	v_add_co_ci_u32_e64 v13, s0, 0, v6, s0
	v_sub_co_u32 v14, s0, v9, s18
	v_sub_co_ci_u32_e32 v10, vcc_lo, v8, v10, vcc_lo
	v_subrev_co_ci_u32_e64 v11, s0, 0, v11, s0
	v_cmp_le_u32_e32 vcc_lo, s18, v14
	v_cmp_eq_u32_e64 s0, s19, v10
	v_cndmask_b32_e64 v14, 0, -1, vcc_lo
	v_cmp_le_u32_e32 vcc_lo, s19, v11
	v_cndmask_b32_e64 v15, 0, -1, vcc_lo
	v_cmp_le_u32_e32 vcc_lo, s18, v9
	;; [unrolled: 2-line block ×3, first 2 shown]
	v_cndmask_b32_e64 v16, 0, -1, vcc_lo
	v_cmp_eq_u32_e32 vcc_lo, s19, v11
	v_cndmask_b32_e64 v9, v16, v9, s0
	v_cndmask_b32_e32 v11, v15, v14, vcc_lo
	v_add_co_u32 v14, vcc_lo, v2, 1
	v_add_co_ci_u32_e32 v15, vcc_lo, 0, v6, vcc_lo
	v_cmp_ne_u32_e32 vcc_lo, 0, v11
	v_cndmask_b32_e32 v10, v15, v13, vcc_lo
	v_cndmask_b32_e32 v11, v14, v12, vcc_lo
	v_cmp_ne_u32_e32 vcc_lo, 0, v9
	v_cndmask_b32_e32 v10, v6, v10, vcc_lo
	v_cndmask_b32_e32 v9, v2, v11, vcc_lo
.LBB0_4:                                ;   in Loop: Header=BB0_2 Depth=1
	s_andn2_saveexec_b32 s0, s1
	s_cbranch_execz .LBB0_6
; %bb.5:                                ;   in Loop: Header=BB0_2 Depth=1
	v_cvt_f32_u32_e32 v2, s18
	s_sub_i32 s1, 0, s18
	v_rcp_iflag_f32_e32 v2, v2
	v_mul_f32_e32 v2, 0x4f7ffffe, v2
	v_cvt_u32_f32_e32 v2, v2
	v_mul_lo_u32 v6, s1, v2
	v_mul_hi_u32 v6, v2, v6
	v_add_nc_u32_e32 v2, v2, v6
	v_mul_hi_u32 v2, v7, v2
	v_mul_lo_u32 v6, v2, s18
	v_add_nc_u32_e32 v9, 1, v2
	v_sub_nc_u32_e32 v6, v7, v6
	v_subrev_nc_u32_e32 v10, s18, v6
	v_cmp_le_u32_e32 vcc_lo, s18, v6
	v_cndmask_b32_e32 v6, v6, v10, vcc_lo
	v_cndmask_b32_e32 v2, v2, v9, vcc_lo
	v_mov_b32_e32 v10, v5
	v_cmp_le_u32_e32 vcc_lo, s18, v6
	v_add_nc_u32_e32 v9, 1, v2
	v_cndmask_b32_e32 v9, v2, v9, vcc_lo
.LBB0_6:                                ;   in Loop: Header=BB0_2 Depth=1
	s_or_b32 exec_lo, exec_lo, s0
	s_load_dwordx2 s[0:1], s[6:7], 0x0
	v_mul_lo_u32 v2, v10, s18
	v_mul_lo_u32 v6, v9, s19
	v_mad_u64_u32 v[11:12], null, v9, s18, 0
	s_add_u32 s16, s16, 1
	s_addc_u32 s17, s17, 0
	s_add_u32 s6, s6, 8
	s_addc_u32 s7, s7, 0
	;; [unrolled: 2-line block ×3, first 2 shown]
	v_add3_u32 v2, v12, v6, v2
	v_sub_co_u32 v6, vcc_lo, v7, v11
	v_sub_co_ci_u32_e32 v2, vcc_lo, v8, v2, vcc_lo
	s_waitcnt lgkmcnt(0)
	v_mul_lo_u32 v7, s1, v6
	v_mul_lo_u32 v2, s0, v2
	v_mad_u64_u32 v[3:4], null, s0, v6, v[3:4]
	v_cmp_ge_u64_e64 s0, s[16:17], s[10:11]
	s_and_b32 vcc_lo, exec_lo, s0
	v_add3_u32 v4, v7, v4, v2
	s_cbranch_vccnz .LBB0_8
; %bb.7:                                ;   in Loop: Header=BB0_2 Depth=1
	v_mov_b32_e32 v7, v9
	v_mov_b32_e32 v8, v10
	s_branch .LBB0_2
.LBB0_8:
	s_lshl_b64 s[0:1], s[10:11], 3
	v_mul_hi_u32 v2, 0xaaaaaaab, v1
	s_add_u32 s0, s12, s0
	s_addc_u32 s1, s13, s1
	s_load_dwordx2 s[4:5], s[4:5], 0x20
	s_load_dwordx2 s[0:1], s[0:1], 0x0
	v_mul_hi_u32 v5, 0x3531ded, v0
	v_lshrrev_b32_e32 v2, 1, v2
	v_lshl_add_u32 v6, v2, 1, v2
	v_sub_nc_u32_e32 v1, v1, v6
	s_waitcnt lgkmcnt(0)
	v_cmp_gt_u64_e32 vcc_lo, s[4:5], v[9:10]
	v_mul_lo_u32 v7, s0, v10
	v_mul_lo_u32 v8, s1, v9
	v_mad_u64_u32 v[2:3], null, s0, v9, v[3:4]
	v_mul_u32_u24_e32 v4, 0x4d, v5
	v_mul_u32_u24_e32 v11, 0x1cf, v1
	v_sub_nc_u32_e32 v48, v0, v4
	v_add3_u32 v3, v8, v3, v7
	v_lshlrev_b32_e32 v114, 4, v11
	v_lshlrev_b64 v[50:51], 4, v[2:3]
	s_and_saveexec_b32 s1, vcc_lo
	s_cbranch_execz .LBB0_12
; %bb.9:
	v_mov_b32_e32 v49, 0
	v_add_co_u32 v0, s0, s2, v50
	v_add_co_ci_u32_e64 v1, s0, s3, v51, s0
	v_lshlrev_b64 v[2:3], 4, v[48:49]
	s_mov_b32 s4, exec_lo
	v_add_co_u32 v7, s0, v0, v2
	v_add_co_ci_u32_e64 v8, s0, v1, v3, s0
	v_lshlrev_b32_e32 v2, 4, v48
	v_add_co_u32 v16, s0, 0x800, v7
	v_add_co_ci_u32_e64 v17, s0, 0, v8, s0
	v_add_co_u32 v20, s0, 0x1000, v7
	v_add_co_ci_u32_e64 v21, s0, 0, v8, s0
	;; [unrolled: 2-line block ×3, first 2 shown]
	s_clause 0x5
	global_load_dwordx4 v[3:6], v[7:8], off
	global_load_dwordx4 v[7:10], v[7:8], off offset:1232
	global_load_dwordx4 v[12:15], v[16:17], off offset:416
	;; [unrolled: 1-line block ×5, first 2 shown]
	v_add3_u32 v2, 0, v114, v2
	s_waitcnt vmcnt(5)
	ds_write_b128 v2, v[3:6]
	s_waitcnt vmcnt(4)
	ds_write_b128 v2, v[7:10] offset:1232
	s_waitcnt vmcnt(3)
	ds_write_b128 v2, v[12:15] offset:2464
	;; [unrolled: 2-line block ×5, first 2 shown]
	v_cmpx_eq_u32_e32 0x4c, v48
	s_cbranch_execz .LBB0_11
; %bb.10:
	v_add_co_u32 v0, s0, 0x1800, v0
	v_add_co_ci_u32_e64 v1, s0, 0, v1, s0
	v_mov_b32_e32 v48, 0x4c
	global_load_dwordx4 v[3:6], v[0:1], off offset:1248
	s_waitcnt vmcnt(0)
	ds_write_b128 v2, v[3:6] offset:6176
.LBB0_11:
	s_or_b32 exec_lo, exec_lo, s4
.LBB0_12:
	s_or_b32 exec_lo, exec_lo, s1
	v_lshl_add_u32 v112, v11, 4, 0
	v_lshlrev_b32_e32 v0, 4, v48
	s_waitcnt lgkmcnt(0)
	s_barrier
	buffer_gl0_inv
	s_add_u32 s1, s8, 0x1c30
	v_add_nc_u32_e32 v113, v112, v0
	v_sub_nc_u32_e32 v10, v112, v0
	s_addc_u32 s4, s9, 0
	s_mov_b32 s5, exec_lo
	ds_read_b64 v[6:7], v113
	ds_read_b64 v[8:9], v10 offset:7392
                                        ; implicit-def: $vgpr4_vgpr5
	s_waitcnt lgkmcnt(0)
	v_add_f64 v[0:1], v[6:7], v[8:9]
	v_add_f64 v[2:3], v[6:7], -v[8:9]
	v_cmpx_ne_u32_e32 0, v48
	s_xor_b32 s5, exec_lo, s5
	s_cbranch_execz .LBB0_14
; %bb.13:
	v_mov_b32_e32 v49, 0
	v_add_f64 v[14:15], v[6:7], v[8:9]
	v_add_f64 v[16:17], v[6:7], -v[8:9]
	v_lshlrev_b64 v[0:1], 4, v[48:49]
	v_add_co_u32 v0, s0, s1, v0
	v_add_co_ci_u32_e64 v1, s0, s4, v1, s0
	global_load_dwordx4 v[2:5], v[0:1], off
	ds_read_b64 v[0:1], v10 offset:7400
	ds_read_b64 v[12:13], v113 offset:8
	s_waitcnt lgkmcnt(0)
	v_add_f64 v[6:7], v[0:1], v[12:13]
	v_add_f64 v[0:1], v[12:13], -v[0:1]
	s_waitcnt vmcnt(0)
	v_fma_f64 v[8:9], v[16:17], v[4:5], v[14:15]
	v_fma_f64 v[12:13], -v[16:17], v[4:5], v[14:15]
	v_fma_f64 v[14:15], v[6:7], v[4:5], -v[0:1]
	v_fma_f64 v[4:5], v[6:7], v[4:5], v[0:1]
	v_fma_f64 v[0:1], -v[6:7], v[2:3], v[8:9]
	v_fma_f64 v[6:7], v[6:7], v[2:3], v[12:13]
	v_fma_f64 v[8:9], v[16:17], v[2:3], v[14:15]
	;; [unrolled: 1-line block ×3, first 2 shown]
	v_mov_b32_e32 v4, v48
	v_mov_b32_e32 v5, v49
	ds_write_b128 v10, v[6:9] offset:7392
.LBB0_14:
	s_andn2_saveexec_b32 s0, s5
	s_cbranch_execz .LBB0_16
; %bb.15:
	ds_read_b128 v[4:7], v112 offset:3696
	s_waitcnt lgkmcnt(0)
	v_add_f64 v[12:13], v[4:5], v[4:5]
	v_mul_f64 v[14:15], v[6:7], -2.0
	v_mov_b32_e32 v4, 0
	v_mov_b32_e32 v5, 0
	ds_write_b128 v112, v[12:15] offset:3696
.LBB0_16:
	s_or_b32 exec_lo, exec_lo, s0
	v_lshlrev_b64 v[4:5], 4, v[4:5]
	ds_write_b128 v113, v[0:3]
	v_lshl_add_u32 v115, v48, 4, 0
	s_mov_b32 s6, 0x9bcd5057
	s_mov_b32 s10, 0xf8bb580b
	;; [unrolled: 1-line block ×3, first 2 shown]
	v_add_co_u32 v8, s0, s1, v4
	v_add_co_ci_u32_e64 v9, s0, s4, v5, s0
	v_lshl_add_u32 v49, v11, 4, v115
	s_mov_b32 s4, 0xfd768dbf
	s_mov_b32 s5, 0xbfd207e7
	global_load_dwordx4 v[4:7], v[8:9], off offset:1232
	v_add_co_u32 v8, s0, 0x800, v8
	v_add_co_ci_u32_e64 v9, s0, 0, v9, s0
	s_mov_b32 s11, 0x3fe14ced
	s_mov_b32 s12, 0x8764f0ba
	;; [unrolled: 1-line block ×3, first 2 shown]
	global_load_dwordx4 v[12:15], v[8:9], off offset:416
	ds_read_b128 v[0:3], v113 offset:1232
	ds_read_b128 v[16:19], v10 offset:6160
	s_mov_b32 s13, 0x3feaeb8c
	s_mov_b32 s15, 0xbfe82f19
	;; [unrolled: 1-line block ×12, first 2 shown]
	s_mov_b32 s33, exec_lo
	s_waitcnt lgkmcnt(0)
	v_add_f64 v[8:9], v[0:1], v[16:17]
	v_add_f64 v[20:21], v[18:19], v[2:3]
	v_add_f64 v[16:17], v[0:1], -v[16:17]
	v_add_f64 v[0:1], v[2:3], -v[18:19]
	s_waitcnt vmcnt(1)
	v_fma_f64 v[2:3], v[16:17], v[6:7], v[8:9]
	v_fma_f64 v[18:19], v[20:21], v[6:7], v[0:1]
	v_fma_f64 v[8:9], -v[16:17], v[6:7], v[8:9]
	v_fma_f64 v[22:23], v[20:21], v[6:7], -v[0:1]
	v_fma_f64 v[0:1], -v[20:21], v[4:5], v[2:3]
	v_fma_f64 v[2:3], v[16:17], v[4:5], v[18:19]
	v_fma_f64 v[6:7], v[20:21], v[4:5], v[8:9]
	;; [unrolled: 1-line block ×3, first 2 shown]
	ds_write_b128 v113, v[0:3] offset:1232
	ds_write_b128 v10, v[6:9] offset:6160
	ds_read_b128 v[0:3], v113 offset:2464
	ds_read_b128 v[4:7], v10 offset:4928
	s_waitcnt lgkmcnt(0)
	v_add_f64 v[8:9], v[0:1], v[4:5]
	v_add_f64 v[16:17], v[6:7], v[2:3]
	v_add_f64 v[18:19], v[0:1], -v[4:5]
	v_add_f64 v[0:1], v[2:3], -v[6:7]
	s_waitcnt vmcnt(0)
	v_fma_f64 v[2:3], v[18:19], v[14:15], v[8:9]
	v_fma_f64 v[4:5], v[16:17], v[14:15], v[0:1]
	v_fma_f64 v[6:7], -v[18:19], v[14:15], v[8:9]
	v_fma_f64 v[8:9], v[16:17], v[14:15], -v[0:1]
	v_fma_f64 v[0:1], -v[16:17], v[12:13], v[2:3]
	v_fma_f64 v[2:3], v[18:19], v[12:13], v[4:5]
	v_fma_f64 v[4:5], v[16:17], v[12:13], v[6:7]
	;; [unrolled: 1-line block ×3, first 2 shown]
	ds_write_b128 v113, v[0:3] offset:2464
	ds_write_b128 v10, v[4:7] offset:4928
	s_waitcnt lgkmcnt(0)
	s_barrier
	buffer_gl0_inv
	s_barrier
	buffer_gl0_inv
	ds_read_b128 v[4:7], v49 offset:6720
	ds_read_b128 v[32:35], v49 offset:672
	;; [unrolled: 1-line block ×3, first 2 shown]
	ds_read_b128 v[16:19], v113
	ds_read_b128 v[36:39], v49 offset:1344
	ds_read_b128 v[40:43], v49 offset:2016
	;; [unrolled: 1-line block ×7, first 2 shown]
	s_waitcnt lgkmcnt(0)
	s_barrier
	buffer_gl0_inv
	v_add_f64 v[74:75], v[34:35], -v[6:7]
	v_add_f64 v[88:89], v[32:33], -v[4:5]
	v_add_f64 v[80:81], v[32:33], v[4:5]
	v_add_f64 v[82:83], v[38:39], -v[10:11]
	v_add_f64 v[96:97], v[34:35], v[6:7]
	;; [unrolled: 2-line block ×3, first 2 shown]
	v_add_f64 v[84:85], v[38:39], v[10:11]
	v_add_f64 v[66:67], v[42:43], -v[14:15]
	v_add_f64 v[54:55], v[40:41], -v[12:13]
	v_add_f64 v[70:71], v[40:41], v[12:13]
	v_add_f64 v[86:87], v[42:43], v[14:15]
	v_add_f64 v[72:73], v[46:47], -v[22:23]
	v_add_f64 v[56:57], v[44:45], -v[20:21]
	v_add_f64 v[62:63], v[44:45], v[20:21]
	v_add_f64 v[76:77], v[46:47], v[22:23]
	v_add_f64 v[68:69], v[30:31], -v[26:27]
	v_add_f64 v[58:59], v[28:29], -v[24:25]
	v_mul_f64 v[98:99], v[74:75], s[4:5]
	v_mul_f64 v[100:101], v[88:89], s[4:5]
	;; [unrolled: 1-line block ×10, first 2 shown]
	v_fma_f64 v[0:1], v[80:81], s[6:7], v[98:99]
	v_fma_f64 v[2:3], v[96:97], s[6:7], -v[100:101]
	v_fma_f64 v[64:65], v[60:61], s[12:13], v[90:91]
	v_fma_f64 v[78:79], v[84:85], s[12:13], -v[104:105]
	;; [unrolled: 2-line block ×4, first 2 shown]
	v_add_f64 v[0:1], v[16:17], v[0:1]
	v_add_f64 v[2:3], v[18:19], v[2:3]
	;; [unrolled: 1-line block ×8, first 2 shown]
	v_fma_f64 v[116:117], v[64:65], s[22:23], v[106:107]
	v_fma_f64 v[118:119], v[78:79], s[22:23], -v[110:111]
	v_add_f64 v[0:1], v[120:121], v[0:1]
	v_add_f64 v[2:3], v[122:123], v[2:3]
	;; [unrolled: 1-line block ×4, first 2 shown]
	v_cmpx_gt_u32_e32 42, v48
	s_cbranch_execz .LBB0_18
; %bb.17:
	v_add_f64 v[34:35], v[18:19], v[34:35]
	v_add_f64 v[32:33], v[16:17], v[32:33]
	v_mul_f64 v[116:117], v[84:85], s[12:13]
	s_mov_b32 s27, 0x3fe82f19
	s_mov_b32 s26, s14
	;; [unrolled: 1-line block ×4, first 2 shown]
	v_mul_f64 v[118:119], v[60:61], s[12:13]
	v_mul_f64 v[120:121], v[86:87], s[16:17]
	;; [unrolled: 1-line block ×5, first 2 shown]
	s_mov_b32 s29, 0x3fd207e7
	s_mov_b32 s28, s4
	;; [unrolled: 1-line block ×6, first 2 shown]
	v_add_f64 v[34:35], v[34:35], v[38:39]
	v_add_f64 v[32:33], v[32:33], v[36:37]
	v_mul_f64 v[36:37], v[96:97], s[6:7]
	v_mul_f64 v[38:39], v[80:81], s[6:7]
	v_add_f64 v[104:105], v[104:105], v[116:117]
	v_mul_f64 v[116:117], v[86:87], s[12:13]
	v_add_f64 v[90:91], v[118:119], -v[90:91]
	v_add_f64 v[94:95], v[94:95], v[120:121]
	v_mul_f64 v[120:121], v[82:83], s[28:29]
	v_add_f64 v[106:107], v[122:123], -v[106:107]
	v_fma_f64 v[118:119], v[52:53], s[20:21], v[126:127]
	v_add_f64 v[92:93], v[124:125], -v[92:93]
	v_fma_f64 v[126:127], v[52:53], s[30:31], v[126:127]
	v_add_f64 v[34:35], v[34:35], v[42:43]
	v_add_f64 v[32:33], v[32:33], v[40:41]
	v_mul_f64 v[42:43], v[96:97], s[16:17]
	v_mul_f64 v[40:41], v[78:79], s[22:23]
	v_add_f64 v[36:37], v[100:101], v[36:37]
	v_add_f64 v[38:39], v[38:39], -v[98:99]
	v_mul_f64 v[98:99], v[74:75], s[20:21]
	v_mul_f64 v[100:101], v[84:85], s[6:7]
	v_add_f64 v[34:35], v[34:35], v[46:47]
	v_add_f64 v[32:33], v[32:33], v[44:45]
	v_mul_f64 v[44:45], v[76:77], s[24:25]
	v_mul_f64 v[46:47], v[74:75], s[14:15]
	v_add_f64 v[40:41], v[110:111], v[40:41]
	v_mul_f64 v[110:111], v[96:97], s[24:25]
	v_add_f64 v[36:37], v[18:19], v[36:37]
	v_add_f64 v[38:39], v[16:17], v[38:39]
	v_fma_f64 v[122:123], v[80:81], s[22:23], v[98:99]
	v_fma_f64 v[98:99], v[80:81], s[22:23], -v[98:99]
	v_add_f64 v[30:31], v[34:35], v[30:31]
	v_add_f64 v[28:29], v[32:33], v[28:29]
	v_mul_f64 v[32:33], v[62:63], s[24:25]
	v_mul_f64 v[34:35], v[96:97], s[22:23]
	v_add_f64 v[44:45], v[108:109], v[44:45]
	v_fma_f64 v[108:109], v[80:81], s[16:17], v[46:47]
	v_mul_f64 v[96:97], v[96:97], s[12:13]
	v_fma_f64 v[46:47], v[80:81], s[16:17], -v[46:47]
	v_fma_f64 v[124:125], v[88:89], s[18:19], v[110:111]
	v_add_f64 v[36:37], v[104:105], v[36:37]
	v_fma_f64 v[104:105], v[52:53], s[4:5], v[100:101]
	v_add_f64 v[38:39], v[90:91], v[38:39]
	;; [unrolled: 2-line block ×3, first 2 shown]
	v_fma_f64 v[100:101], v[52:53], s[28:29], v[100:101]
	v_fma_f64 v[120:121], v[60:61], s[6:7], -v[120:121]
	v_add_f64 v[98:99], v[16:17], v[98:99]
	v_add_f64 v[26:27], v[30:31], v[26:27]
	;; [unrolled: 1-line block ×3, first 2 shown]
	v_fma_f64 v[28:29], v[88:89], s[26:27], v[42:43]
	v_mul_f64 v[30:31], v[82:83], s[30:31]
	v_fma_f64 v[42:43], v[88:89], s[14:15], v[42:43]
	v_add_f64 v[32:33], v[32:33], -v[102:103]
	v_fma_f64 v[102:103], v[88:89], s[30:31], v[34:35]
	v_fma_f64 v[34:35], v[88:89], s[20:21], v[34:35]
	v_add_f64 v[46:47], v[16:17], v[46:47]
	v_add_f64 v[36:37], v[94:95], v[36:37]
	;; [unrolled: 1-line block ×3, first 2 shown]
	v_mul_f64 v[92:93], v[72:73], s[0:1]
	v_add_f64 v[90:91], v[90:91], v[122:123]
	v_mul_f64 v[122:123], v[72:73], s[4:5]
	v_add_f64 v[98:99], v[120:121], v[98:99]
	v_add_f64 v[22:23], v[26:27], v[22:23]
	;; [unrolled: 1-line block ×4, first 2 shown]
	v_fma_f64 v[24:25], v[60:61], s[22:23], v[30:31]
	v_add_f64 v[26:27], v[16:17], v[108:109]
	v_fma_f64 v[108:109], v[88:89], s[34:35], v[110:111]
	v_fma_f64 v[110:111], v[88:89], s[10:11], v[96:97]
	;; [unrolled: 1-line block ×3, first 2 shown]
	v_mul_f64 v[96:97], v[66:67], s[0:1]
	v_add_f64 v[42:43], v[18:19], v[42:43]
	v_fma_f64 v[30:31], v[60:61], s[22:23], -v[30:31]
	v_add_f64 v[102:103], v[18:19], v[102:103]
	v_add_f64 v[34:35], v[18:19], v[34:35]
	;; [unrolled: 1-line block ×3, first 2 shown]
	v_mul_f64 v[44:45], v[82:83], s[14:15]
	v_add_f64 v[32:33], v[32:33], v[38:39]
	v_add_f64 v[14:15], v[22:23], v[14:15]
	;; [unrolled: 1-line block ×4, first 2 shown]
	v_mul_f64 v[118:119], v[86:87], s[24:25]
	v_add_f64 v[24:25], v[24:25], v[26:27]
	v_mul_f64 v[26:27], v[66:67], s[18:19]
	v_add_f64 v[108:109], v[18:19], v[108:109]
	v_add_f64 v[110:111], v[18:19], v[110:111]
	v_mul_f64 v[22:23], v[68:69], s[18:19]
	v_add_f64 v[42:43], v[126:127], v[42:43]
	v_fma_f64 v[126:127], v[54:55], s[10:11], v[116:117]
	v_add_f64 v[30:31], v[30:31], v[46:47]
	v_fma_f64 v[46:47], v[70:71], s[12:13], v[96:97]
	v_add_f64 v[102:103], v[104:105], v[102:103]
	v_mul_f64 v[104:105], v[76:77], s[6:7]
	v_fma_f64 v[116:117], v[54:55], s[0:1], v[116:117]
	v_add_f64 v[34:35], v[100:101], v[34:35]
	v_mul_f64 v[100:101], v[76:77], s[12:13]
	v_fma_f64 v[96:97], v[70:71], s[12:13], -v[96:97]
	v_fma_f64 v[120:121], v[54:55], s[34:35], v[118:119]
	v_fma_f64 v[118:119], v[54:55], s[18:19], v[118:119]
	;; [unrolled: 1-line block ×3, first 2 shown]
	v_fma_f64 v[26:27], v[70:71], s[24:25], -v[26:27]
	v_add_f64 v[28:29], v[126:127], v[28:29]
	v_mul_f64 v[126:127], v[74:75], s[34:35]
	v_add_f64 v[24:25], v[46:47], v[24:25]
	v_mul_f64 v[74:75], v[74:75], s[0:1]
	v_fma_f64 v[46:47], v[56:57], s[28:29], v[104:105]
	v_add_f64 v[42:43], v[116:117], v[42:43]
	v_fma_f64 v[116:117], v[62:63], s[6:7], v[122:123]
	v_fma_f64 v[104:105], v[56:57], s[4:5], v[104:105]
	v_add_f64 v[30:31], v[96:97], v[30:31]
	v_fma_f64 v[96:97], v[56:57], s[10:11], v[100:101]
	v_fma_f64 v[122:123], v[62:63], s[6:7], -v[122:123]
	v_fma_f64 v[100:101], v[56:57], s[0:1], v[100:101]
	v_add_f64 v[102:103], v[120:121], v[102:103]
	v_mul_f64 v[120:121], v[84:85], s[16:17]
	v_add_f64 v[90:91], v[94:95], v[90:91]
	v_fma_f64 v[94:95], v[62:63], s[12:13], v[92:93]
	v_mul_f64 v[84:85], v[84:85], s[24:25]
	v_add_f64 v[34:35], v[118:119], v[34:35]
	v_add_f64 v[26:27], v[26:27], v[98:99]
	v_fma_f64 v[38:39], v[80:81], s[24:25], v[126:127]
	v_fma_f64 v[126:127], v[80:81], s[24:25], -v[126:127]
	v_add_f64 v[28:29], v[46:47], v[28:29]
	v_fma_f64 v[46:47], v[80:81], s[12:13], v[74:75]
	v_fma_f64 v[74:75], v[80:81], s[12:13], -v[74:75]
	v_mul_f64 v[80:81], v[82:83], s[34:35]
	v_add_f64 v[24:25], v[116:117], v[24:25]
	v_add_f64 v[42:43], v[104:105], v[42:43]
	;; [unrolled: 1-line block ×3, first 2 shown]
	v_fma_f64 v[104:105], v[60:61], s[16:17], v[44:45]
	v_mul_f64 v[122:123], v[66:67], s[20:21]
	v_fma_f64 v[44:45], v[60:61], s[16:17], -v[44:45]
	v_mul_f64 v[66:67], v[66:67], s[28:29]
	v_add_f64 v[96:97], v[96:97], v[102:103]
	v_add_f64 v[102:103], v[18:19], v[124:125]
	v_fma_f64 v[116:117], v[52:53], s[14:15], v[120:121]
	v_add_f64 v[90:91], v[94:95], v[90:91]
	v_fma_f64 v[94:95], v[52:53], s[26:27], v[120:121]
	v_mul_f64 v[120:121], v[86:87], s[6:7]
	v_add_f64 v[18:19], v[18:19], v[88:89]
	v_fma_f64 v[88:89], v[52:53], s[34:35], v[84:85]
	v_mul_f64 v[86:87], v[86:87], s[22:23]
	v_add_f64 v[38:39], v[16:17], v[38:39]
	v_add_f64 v[118:119], v[16:17], v[126:127]
	v_fma_f64 v[20:21], v[52:53], s[18:19], v[84:85]
	v_add_f64 v[46:47], v[16:17], v[46:47]
	v_add_f64 v[16:17], v[16:17], v[74:75]
	v_fma_f64 v[74:75], v[60:61], s[24:25], -v[80:81]
	v_fma_f64 v[60:61], v[60:61], s[24:25], v[80:81]
	v_mul_f64 v[30:31], v[78:79], s[24:25]
	v_mul_f64 v[80:81], v[68:69], s[14:15]
	v_add_f64 v[34:35], v[100:101], v[34:35]
	v_add_f64 v[98:99], v[116:117], v[108:109]
	v_fma_f64 v[116:117], v[70:71], s[6:7], -v[66:67]
	v_add_f64 v[84:85], v[94:95], v[102:103]
	v_mul_f64 v[102:103], v[76:77], s[22:23]
	v_fma_f64 v[108:109], v[54:55], s[28:29], v[120:121]
	v_add_f64 v[18:19], v[88:89], v[18:19]
	v_fma_f64 v[88:89], v[54:55], s[20:21], v[86:87]
	v_add_f64 v[38:39], v[104:105], v[38:39]
	v_fma_f64 v[104:105], v[54:55], s[4:5], v[120:121]
	v_mul_f64 v[76:77], v[76:77], s[16:17]
	v_add_f64 v[44:45], v[44:45], v[118:119]
	v_fma_f64 v[54:55], v[54:55], s[30:31], v[86:87]
	v_add_f64 v[16:17], v[74:75], v[16:17]
	v_fma_f64 v[74:75], v[70:71], s[22:23], -v[122:123]
	v_mul_f64 v[86:87], v[72:73], s[14:15]
	v_mul_f64 v[72:73], v[72:73], s[30:31]
	v_fma_f64 v[66:67], v[70:71], s[6:7], v[66:67]
	v_add_f64 v[20:21], v[20:21], v[110:111]
	v_fma_f64 v[110:111], v[64:65], s[24:25], v[22:23]
	v_fma_f64 v[118:119], v[64:65], s[24:25], -v[22:23]
	v_fma_f64 v[22:23], v[70:71], s[22:23], v[122:123]
	v_add_f64 v[46:47], v[60:61], v[46:47]
	v_mul_f64 v[94:95], v[78:79], s[16:17]
	v_fma_f64 v[60:61], v[62:63], s[12:13], -v[92:93]
	v_mul_f64 v[92:93], v[78:79], s[12:13]
	v_mul_f64 v[78:79], v[78:79], s[6:7]
	v_add_f64 v[98:99], v[108:109], v[98:99]
	v_mul_f64 v[108:109], v[68:69], s[10:11]
	v_add_f64 v[18:19], v[88:89], v[18:19]
	v_fma_f64 v[88:89], v[56:57], s[30:31], v[102:103]
	v_mul_f64 v[68:69], v[68:69], s[4:5]
	v_add_f64 v[84:85], v[104:105], v[84:85]
	v_add_f64 v[44:45], v[116:117], v[44:45]
	v_fma_f64 v[102:103], v[56:57], s[20:21], v[102:103]
	v_fma_f64 v[52:53], v[58:59], s[34:35], v[30:31]
	v_add_f64 v[16:17], v[74:75], v[16:17]
	v_fma_f64 v[74:75], v[56:57], s[14:15], v[76:77]
	v_fma_f64 v[116:117], v[62:63], s[16:17], -v[86:87]
	v_fma_f64 v[104:105], v[62:63], s[22:23], -v[72:73]
	v_add_f64 v[38:39], v[66:67], v[38:39]
	v_fma_f64 v[72:73], v[62:63], s[22:23], v[72:73]
	v_fma_f64 v[56:57], v[56:57], s[26:27], v[76:77]
	v_add_f64 v[20:21], v[54:55], v[20:21]
	v_fma_f64 v[54:55], v[62:63], s[16:17], v[86:87]
	v_add_f64 v[22:23], v[22:23], v[46:47]
	v_fma_f64 v[70:71], v[58:59], s[26:27], v[94:95]
	v_fma_f64 v[46:47], v[58:59], s[14:15], v[94:95]
	v_add_f64 v[94:95], v[14:15], v[10:11]
	v_fma_f64 v[30:31], v[58:59], s[18:19], v[30:31]
	v_fma_f64 v[86:87], v[58:59], s[4:5], v[78:79]
	v_fma_f64 v[66:67], v[64:65], s[16:17], v[80:81]
	v_add_f64 v[76:77], v[88:89], v[98:99]
	v_add_f64 v[98:99], v[12:13], v[8:9]
	v_fma_f64 v[88:89], v[64:65], s[6:7], -v[68:69]
	v_fma_f64 v[62:63], v[64:65], s[16:17], -v[80:81]
	v_add_f64 v[60:61], v[60:61], v[26:27]
	v_fma_f64 v[26:27], v[58:59], s[10:11], v[92:93]
	v_fma_f64 v[80:81], v[64:65], s[12:13], -v[108:109]
	v_add_f64 v[74:75], v[74:75], v[18:19]
	v_add_f64 v[16:17], v[116:117], v[16:17]
	v_add_f64 v[44:45], v[104:105], v[44:45]
	v_fma_f64 v[92:93], v[58:59], s[0:1], v[92:93]
	v_add_f64 v[84:85], v[102:103], v[84:85]
	v_fma_f64 v[100:101], v[64:65], s[12:13], v[108:109]
	v_add_f64 v[72:73], v[72:73], v[38:39]
	;; [unrolled: 2-line block ×4, first 2 shown]
	v_add_f64 v[6:7], v[94:95], v[6:7]
	v_add_f64 v[14:15], v[52:53], v[28:29]
	;; [unrolled: 1-line block ×18, first 2 shown]
	v_mul_u32_u24_e32 v44, 0xa0, v48
	v_add_f64 v[42:43], v[58:59], v[56:57]
	v_add_f64 v[40:41], v[64:65], v[54:55]
	v_add3_u32 v44, v115, v44, v114
	ds_write_b128 v44, v[4:7]
	ds_write_b128 v44, v[28:31] offset:16
	ds_write_b128 v44, v[24:27] offset:32
	;; [unrolled: 1-line block ×10, first 2 shown]
.LBB0_18:
	s_or_b32 exec_lo, exec_lo, s33
	v_and_b32_e32 v4, 0xff, v48
	s_waitcnt lgkmcnt(0)
	s_barrier
	buffer_gl0_inv
	s_mov_b32 s0, 0xe8584caa
	v_mul_lo_u16 v4, 0x75, v4
	s_mov_b32 s1, 0x3febb67a
	s_mov_b32 s5, 0xbfebb67a
	;; [unrolled: 1-line block ×3, first 2 shown]
	v_lshrrev_b16 v4, 8, v4
	v_sub_nc_u16 v5, v48, v4
	v_lshrrev_b16 v5, 1, v5
	v_and_b32_e32 v5, 0x7f, v5
	v_add_nc_u16 v4, v5, v4
	v_mov_b32_e32 v5, 5
	v_lshrrev_b16 v54, 3, v4
	v_mul_lo_u16 v4, v54, 11
	v_sub_nc_u16 v55, v48, v4
	v_mul_u32_u24_sdwa v4, v55, v5 dst_sel:DWORD dst_unused:UNUSED_PAD src0_sel:BYTE_0 src1_sel:DWORD
	v_lshlrev_b32_e32 v20, 4, v4
	s_clause 0x4
	global_load_dwordx4 v[4:7], v20, s[8:9] offset:32
	global_load_dwordx4 v[8:11], v20, s[8:9] offset:64
	global_load_dwordx4 v[12:15], v20, s[8:9]
	global_load_dwordx4 v[16:19], v20, s[8:9] offset:16
	global_load_dwordx4 v[20:23], v20, s[8:9] offset:48
	ds_read_b128 v[24:27], v49 offset:3696
	ds_read_b128 v[28:31], v49 offset:6160
	;; [unrolled: 1-line block ×5, first 2 shown]
	s_waitcnt vmcnt(4) lgkmcnt(4)
	v_mul_f64 v[44:45], v[26:27], v[6:7]
	v_mul_f64 v[6:7], v[24:25], v[6:7]
	s_waitcnt vmcnt(3) lgkmcnt(3)
	v_mul_f64 v[46:47], v[28:29], v[10:11]
	v_mul_f64 v[10:11], v[30:31], v[10:11]
	s_waitcnt vmcnt(2) lgkmcnt(2)
	v_mul_f64 v[52:53], v[34:35], v[14:15]
	v_mul_f64 v[14:15], v[32:33], v[14:15]
	v_fma_f64 v[24:25], v[24:25], v[4:5], -v[44:45]
	v_fma_f64 v[26:27], v[26:27], v[4:5], v[6:7]
	v_fma_f64 v[30:31], v[30:31], v[8:9], v[46:47]
	v_fma_f64 v[8:9], v[28:29], v[8:9], -v[10:11]
	s_waitcnt vmcnt(1) lgkmcnt(1)
	v_mul_f64 v[4:5], v[38:39], v[18:19]
	v_mul_f64 v[6:7], v[36:37], v[18:19]
	s_waitcnt vmcnt(0) lgkmcnt(0)
	v_mul_f64 v[10:11], v[42:43], v[22:23]
	v_mul_f64 v[18:19], v[40:41], v[22:23]
	v_fma_f64 v[22:23], v[32:33], v[12:13], -v[52:53]
	v_fma_f64 v[12:13], v[34:35], v[12:13], v[14:15]
	v_add_f64 v[14:15], v[26:27], v[30:31]
	v_add_f64 v[28:29], v[24:25], v[8:9]
	v_fma_f64 v[32:33], v[36:37], v[16:17], -v[4:5]
	v_fma_f64 v[16:17], v[38:39], v[16:17], v[6:7]
	v_fma_f64 v[10:11], v[40:41], v[20:21], -v[10:11]
	v_fma_f64 v[18:19], v[42:43], v[20:21], v[18:19]
	v_add_f64 v[20:21], v[26:27], -v[30:31]
	v_add_f64 v[34:35], v[24:25], -v[8:9]
	ds_read_b128 v[4:7], v113
	s_waitcnt lgkmcnt(0)
	s_barrier
	buffer_gl0_inv
	v_fma_f64 v[14:15], v[14:15], -0.5, v[12:13]
	v_fma_f64 v[28:29], v[28:29], -0.5, v[22:23]
	v_add_f64 v[22:23], v[22:23], v[24:25]
	v_add_f64 v[12:13], v[12:13], v[26:27]
	;; [unrolled: 1-line block ×4, first 2 shown]
	v_add_f64 v[24:25], v[32:33], -v[10:11]
	v_fma_f64 v[40:41], v[34:35], s[4:5], v[14:15]
	v_fma_f64 v[42:43], v[20:21], s[4:5], v[28:29]
	;; [unrolled: 1-line block ×4, first 2 shown]
	v_add_f64 v[28:29], v[4:5], v[32:33]
	v_add_f64 v[34:35], v[16:17], -v[18:19]
	v_add_f64 v[16:17], v[6:7], v[16:17]
	v_fma_f64 v[4:5], v[36:37], -0.5, v[4:5]
	v_fma_f64 v[6:7], v[38:39], -0.5, v[6:7]
	v_add_f64 v[8:9], v[22:23], v[8:9]
	v_mul_f64 v[26:27], v[40:41], s[0:1]
	v_mul_f64 v[32:33], v[42:43], -0.5
	v_mul_f64 v[36:37], v[20:21], s[4:5]
	v_mul_f64 v[38:39], v[14:15], -0.5
	v_add_f64 v[10:11], v[28:29], v[10:11]
	v_add_f64 v[16:17], v[16:17], v[18:19]
	;; [unrolled: 1-line block ×3, first 2 shown]
	v_fma_f64 v[22:23], v[34:35], s[0:1], v[4:5]
	v_fma_f64 v[28:29], v[34:35], s[4:5], v[4:5]
	;; [unrolled: 1-line block ×4, first 2 shown]
	v_fma_f64 v[20:21], v[20:21], 0.5, v[26:27]
	v_fma_f64 v[24:25], v[14:15], s[0:1], v[32:33]
	v_fma_f64 v[26:27], v[40:41], 0.5, v[36:37]
	v_fma_f64 v[32:33], v[42:43], s[4:5], v[38:39]
	v_add_f64 v[4:5], v[10:11], v[8:9]
	v_add_f64 v[12:13], v[10:11], -v[8:9]
	v_cmp_gt_u32_e64 s0, 0x42, v48
	v_add_f64 v[6:7], v[16:17], v[18:19]
	v_add_f64 v[14:15], v[16:17], -v[18:19]
	v_add_f64 v[8:9], v[22:23], v[20:21]
	v_add_f64 v[16:17], v[28:29], v[24:25]
	;; [unrolled: 1-line block ×4, first 2 shown]
	v_add_f64 v[20:21], v[22:23], -v[20:21]
	v_add_f64 v[24:25], v[28:29], -v[24:25]
	;; [unrolled: 1-line block ×4, first 2 shown]
	v_and_b32_e32 v28, 0xffff, v54
	v_mov_b32_e32 v29, 4
	v_mad_u32_u24 v28, 0x420, v28, 0
	v_lshlrev_b32_sdwa v29, v29, v55 dst_sel:DWORD dst_unused:UNUSED_PAD src0_sel:DWORD src1_sel:BYTE_0
	v_add3_u32 v28, v28, v29, v114
	ds_write_b128 v28, v[4:7]
	ds_write_b128 v28, v[12:15] offset:528
	ds_write_b128 v28, v[8:11] offset:176
	;; [unrolled: 1-line block ×5, first 2 shown]
	s_waitcnt lgkmcnt(0)
	s_barrier
	buffer_gl0_inv
	s_and_saveexec_b32 s1, s0
	s_cbranch_execz .LBB0_20
; %bb.19:
	ds_read_b128 v[4:7], v113
	ds_read_b128 v[8:11], v49 offset:1056
	ds_read_b128 v[16:19], v49 offset:2112
	;; [unrolled: 1-line block ×6, first 2 shown]
.LBB0_20:
	s_or_b32 exec_lo, exec_lo, s1
	s_waitcnt lgkmcnt(0)
	s_barrier
	buffer_gl0_inv
	s_and_saveexec_b32 s1, s0
	s_cbranch_execz .LBB0_22
; %bb.21:
	v_add_nc_u32_e32 v28, 0xffffffbe, v48
	v_mov_b32_e32 v29, 0
	s_mov_b32 s4, 0xe976ee23
	s_mov_b32 s5, 0xbfe11646
	;; [unrolled: 1-line block ×3, first 2 shown]
	v_cndmask_b32_e64 v28, v28, v48, s0
	s_mov_b32 s7, 0x3fe948f6
	s_mov_b32 s13, 0xbfe77f67
	;; [unrolled: 1-line block ×4, first 2 shown]
	v_mul_i32_i24_e32 v28, 6, v28
	s_mov_b32 s11, 0xbff2aaaa
	v_lshlrev_b64 v[28:29], 4, v[28:29]
	v_add_co_u32 v52, s0, s8, v28
	v_add_co_ci_u32_e64 v53, s0, s9, v29, s0
	s_mov_b32 s8, 0x429ad128
	s_mov_b32 s9, 0x3febfeb5
	s_clause 0x5
	global_load_dwordx4 v[28:31], v[52:53], off offset:896
	global_load_dwordx4 v[32:35], v[52:53], off offset:944
	;; [unrolled: 1-line block ×6, first 2 shown]
	s_waitcnt vmcnt(5)
	v_mul_f64 v[56:57], v[16:17], v[30:31]
	s_waitcnt vmcnt(4)
	v_mul_f64 v[58:59], v[24:25], v[34:35]
	;; [unrolled: 2-line block ×4, first 2 shown]
	v_mul_f64 v[30:31], v[18:19], v[30:31]
	v_mul_f64 v[34:35], v[26:27], v[34:35]
	;; [unrolled: 1-line block ×4, first 2 shown]
	s_waitcnt vmcnt(1)
	v_mul_f64 v[64:65], v[22:23], v[46:47]
	s_waitcnt vmcnt(0)
	v_mul_f64 v[66:67], v[14:15], v[54:55]
	v_mul_f64 v[54:55], v[12:13], v[54:55]
	;; [unrolled: 1-line block ×3, first 2 shown]
	v_fma_f64 v[18:19], v[18:19], v[28:29], v[56:57]
	v_fma_f64 v[26:27], v[26:27], v[32:33], v[58:59]
	;; [unrolled: 1-line block ×4, first 2 shown]
	v_fma_f64 v[16:17], v[16:17], v[28:29], -v[30:31]
	v_fma_f64 v[24:25], v[24:25], v[32:33], -v[34:35]
	;; [unrolled: 1-line block ×6, first 2 shown]
	v_fma_f64 v[14:15], v[14:15], v[52:53], v[54:55]
	v_fma_f64 v[22:23], v[22:23], v[44:45], v[46:47]
	v_add_f64 v[28:29], v[18:19], v[26:27]
	v_add_f64 v[18:19], v[18:19], -v[26:27]
	v_add_f64 v[30:31], v[10:11], v[2:3]
	v_add_f64 v[10:11], v[10:11], -v[2:3]
	;; [unrolled: 2-line block ×4, first 2 shown]
	v_add_f64 v[36:37], v[20:21], -v[12:13]
	v_add_f64 v[12:13], v[12:13], v[20:21]
	v_add_f64 v[24:25], v[14:15], v[22:23]
	v_add_f64 v[14:15], v[22:23], -v[14:15]
	v_add_f64 v[0:1], v[28:29], v[30:31]
	v_add_f64 v[44:45], v[18:19], -v[10:11]
	;; [unrolled: 2-line block ×3, first 2 shown]
	v_add_f64 v[20:21], v[36:37], -v[16:17]
	v_add_f64 v[38:39], v[34:35], -v[12:13]
	;; [unrolled: 1-line block ×4, first 2 shown]
	v_add_f64 v[16:17], v[36:37], v[16:17]
	v_add_f64 v[36:37], v[8:9], -v[36:37]
	v_add_f64 v[52:53], v[10:11], -v[14:15]
	v_add_f64 v[42:43], v[24:25], v[0:1]
	v_add_f64 v[24:25], v[24:25], -v[28:29]
	v_add_f64 v[28:29], v[28:29], -v[30:31]
	;; [unrolled: 1-line block ×3, first 2 shown]
	v_add_f64 v[46:47], v[12:13], v[2:3]
	v_add_f64 v[12:13], v[12:13], -v[32:33]
	v_mul_f64 v[20:21], v[20:21], s[4:5]
	v_mul_f64 v[32:33], v[38:39], s[6:7]
	;; [unrolled: 1-line block ×4, first 2 shown]
	s_mov_b32 s4, 0x36b3c0b5
	s_mov_b32 s5, 0x3fac98ee
	v_mul_f64 v[34:35], v[40:41], s[8:9]
	s_mov_b32 s7, 0x3fd5d0dc
	s_mov_b32 s6, 0xb247c609
	v_add_f64 v[8:9], v[16:17], v[8:9]
	v_add_f64 v[2:3], v[6:7], v[42:43]
	;; [unrolled: 1-line block ×3, first 2 shown]
	v_mul_f64 v[14:15], v[24:25], s[4:5]
	v_mul_f64 v[18:19], v[44:45], s[8:9]
	v_add_f64 v[0:1], v[4:5], v[46:47]
	v_mul_f64 v[4:5], v[12:13], s[4:5]
	v_fma_f64 v[16:17], v[36:37], s[6:7], v[20:21]
	v_fma_f64 v[54:55], v[30:31], s[12:13], -v[32:33]
	v_fma_f64 v[24:25], v[24:25], s[4:5], v[22:23]
	v_fma_f64 v[38:39], v[52:53], s[6:7], v[26:27]
	s_mov_b32 s7, 0xbfd5d0dc
	v_fma_f64 v[22:23], v[28:29], s[12:13], -v[22:23]
	s_mov_b32 s13, 0x3fe77f67
	v_fma_f64 v[34:35], v[36:37], s[6:7], -v[34:35]
	v_fma_f64 v[12:13], v[12:13], s[4:5], v[32:33]
	v_fma_f64 v[20:21], v[40:41], s[8:9], -v[20:21]
	s_mov_b32 s4, 0x37c3f68c
	s_mov_b32 s5, 0x3fdc38aa
	v_fma_f64 v[36:37], v[42:43], s[10:11], v[2:3]
	v_add_f64 v[6:7], v[6:7], v[10:11]
	v_fma_f64 v[10:11], v[28:29], s[12:13], -v[14:15]
	v_fma_f64 v[14:15], v[44:45], s[8:9], -v[26:27]
	v_fma_f64 v[26:27], v[46:47], s[10:11], v[0:1]
	v_fma_f64 v[18:19], v[52:53], s[6:7], -v[18:19]
	v_fma_f64 v[4:5], v[30:31], s[12:13], -v[4:5]
	v_fma_f64 v[16:17], v[8:9], s[4:5], v[16:17]
	v_fma_f64 v[20:21], v[8:9], s[4:5], v[20:21]
	;; [unrolled: 1-line block ×3, first 2 shown]
	v_add_f64 v[24:25], v[24:25], v[36:37]
	v_add_f64 v[22:23], v[22:23], v[36:37]
	;; [unrolled: 1-line block ×3, first 2 shown]
	v_fma_f64 v[30:31], v[6:7], s[4:5], v[38:39]
	v_add_f64 v[36:37], v[12:13], v[26:27]
	v_fma_f64 v[34:35], v[6:7], s[4:5], v[18:19]
	v_add_f64 v[38:39], v[54:55], v[26:27]
	;; [unrolled: 2-line block ×3, first 2 shown]
	v_add_f64 v[6:7], v[16:17], v[24:25]
	v_add_f64 v[26:27], v[24:25], -v[16:17]
	v_add_f64 v[10:11], v[8:9], v[22:23]
	v_add_f64 v[14:15], v[28:29], -v[20:21]
	v_add_f64 v[24:25], v[30:31], v[36:37]
	v_add_f64 v[18:19], v[20:21], v[28:29]
	v_add_f64 v[22:23], v[22:23], -v[8:9]
	v_add_f64 v[20:21], v[34:35], v[38:39]
	v_add_f64 v[16:17], v[4:5], -v[32:33]
	;; [unrolled: 2-line block ×3, first 2 shown]
	v_add_f64 v[4:5], v[36:37], -v[30:31]
	ds_write_b128 v113, v[0:3]
	ds_write_b128 v49, v[24:27] offset:1056
	ds_write_b128 v49, v[20:23] offset:2112
	;; [unrolled: 1-line block ×6, first 2 shown]
.LBB0_22:
	s_or_b32 exec_lo, exec_lo, s1
	s_waitcnt lgkmcnt(0)
	s_barrier
	buffer_gl0_inv
	s_and_saveexec_b32 s0, vcc_lo
	s_cbranch_execz .LBB0_24
; %bb.23:
	v_lshl_add_u32 v16, v48, 4, v112
	v_mov_b32_e32 v49, 0
	v_add_co_u32 v30, vcc_lo, s2, v50
	v_add_nc_u32_e32 v8, 0x4d, v48
	ds_read_b128 v[0:3], v16
	ds_read_b128 v[4:7], v16 offset:1232
	v_lshlrev_b64 v[12:13], 4, v[48:49]
	v_mov_b32_e32 v9, v49
	v_add_co_ci_u32_e32 v31, vcc_lo, s3, v51, vcc_lo
	v_add_nc_u32_e32 v10, 0x9a, v48
	v_mov_b32_e32 v11, v49
	v_add_co_u32 v12, vcc_lo, v30, v12
	v_lshlrev_b64 v[8:9], 4, v[8:9]
	v_add_co_ci_u32_e32 v13, vcc_lo, v31, v13, vcc_lo
	v_lshlrev_b64 v[10:11], 4, v[10:11]
	v_add_nc_u32_e32 v24, 0x134, v48
	v_mov_b32_e32 v25, v49
	v_add_co_u32 v20, vcc_lo, v30, v8
	v_add_co_ci_u32_e32 v21, vcc_lo, v31, v9, vcc_lo
	s_waitcnt lgkmcnt(1)
	global_store_dwordx4 v[12:13], v[0:3], off
	v_add_nc_u32_e32 v12, 0xe7, v48
	v_mov_b32_e32 v13, v49
	v_add_co_u32 v22, vcc_lo, v30, v10
	v_add_co_ci_u32_e32 v23, vcc_lo, v31, v11, vcc_lo
	ds_read_b128 v[0:3], v16 offset:2464
	ds_read_b128 v[8:11], v16 offset:3696
	v_lshlrev_b64 v[26:27], 4, v[12:13]
	ds_read_b128 v[12:15], v16 offset:4928
	ds_read_b128 v[16:19], v16 offset:6160
	v_add_nc_u32_e32 v48, 0x181, v48
	v_lshlrev_b64 v[24:25], 4, v[24:25]
	v_add_co_u32 v26, vcc_lo, v30, v26
	v_lshlrev_b64 v[28:29], 4, v[48:49]
	v_add_co_ci_u32_e32 v27, vcc_lo, v31, v27, vcc_lo
	v_add_co_u32 v24, vcc_lo, v30, v24
	v_add_co_ci_u32_e32 v25, vcc_lo, v31, v25, vcc_lo
	v_add_co_u32 v28, vcc_lo, v30, v28
	v_add_co_ci_u32_e32 v29, vcc_lo, v31, v29, vcc_lo
	s_waitcnt lgkmcnt(4)
	global_store_dwordx4 v[20:21], v[4:7], off
	s_waitcnt lgkmcnt(3)
	global_store_dwordx4 v[22:23], v[0:3], off
	;; [unrolled: 2-line block ×5, first 2 shown]
.LBB0_24:
	s_endpgm
	.section	.rodata,"a",@progbits
	.p2align	6, 0x0
	.amdhsa_kernel fft_rtc_fwd_len462_factors_11_6_7_wgs_231_tpt_77_dp_ip_CI_unitstride_sbrr_C2R_dirReg
		.amdhsa_group_segment_fixed_size 0
		.amdhsa_private_segment_fixed_size 0
		.amdhsa_kernarg_size 88
		.amdhsa_user_sgpr_count 6
		.amdhsa_user_sgpr_private_segment_buffer 1
		.amdhsa_user_sgpr_dispatch_ptr 0
		.amdhsa_user_sgpr_queue_ptr 0
		.amdhsa_user_sgpr_kernarg_segment_ptr 1
		.amdhsa_user_sgpr_dispatch_id 0
		.amdhsa_user_sgpr_flat_scratch_init 0
		.amdhsa_user_sgpr_private_segment_size 0
		.amdhsa_wavefront_size32 1
		.amdhsa_uses_dynamic_stack 0
		.amdhsa_system_sgpr_private_segment_wavefront_offset 0
		.amdhsa_system_sgpr_workgroup_id_x 1
		.amdhsa_system_sgpr_workgroup_id_y 0
		.amdhsa_system_sgpr_workgroup_id_z 0
		.amdhsa_system_sgpr_workgroup_info 0
		.amdhsa_system_vgpr_workitem_id 0
		.amdhsa_next_free_vgpr 128
		.amdhsa_next_free_sgpr 36
		.amdhsa_reserve_vcc 1
		.amdhsa_reserve_flat_scratch 0
		.amdhsa_float_round_mode_32 0
		.amdhsa_float_round_mode_16_64 0
		.amdhsa_float_denorm_mode_32 3
		.amdhsa_float_denorm_mode_16_64 3
		.amdhsa_dx10_clamp 1
		.amdhsa_ieee_mode 1
		.amdhsa_fp16_overflow 0
		.amdhsa_workgroup_processor_mode 1
		.amdhsa_memory_ordered 1
		.amdhsa_forward_progress 0
		.amdhsa_shared_vgpr_count 0
		.amdhsa_exception_fp_ieee_invalid_op 0
		.amdhsa_exception_fp_denorm_src 0
		.amdhsa_exception_fp_ieee_div_zero 0
		.amdhsa_exception_fp_ieee_overflow 0
		.amdhsa_exception_fp_ieee_underflow 0
		.amdhsa_exception_fp_ieee_inexact 0
		.amdhsa_exception_int_div_zero 0
	.end_amdhsa_kernel
	.text
.Lfunc_end0:
	.size	fft_rtc_fwd_len462_factors_11_6_7_wgs_231_tpt_77_dp_ip_CI_unitstride_sbrr_C2R_dirReg, .Lfunc_end0-fft_rtc_fwd_len462_factors_11_6_7_wgs_231_tpt_77_dp_ip_CI_unitstride_sbrr_C2R_dirReg
                                        ; -- End function
	.section	.AMDGPU.csdata,"",@progbits
; Kernel info:
; codeLenInByte = 7600
; NumSgprs: 38
; NumVgprs: 128
; ScratchSize: 0
; MemoryBound: 0
; FloatMode: 240
; IeeeMode: 1
; LDSByteSize: 0 bytes/workgroup (compile time only)
; SGPRBlocks: 4
; VGPRBlocks: 15
; NumSGPRsForWavesPerEU: 38
; NumVGPRsForWavesPerEU: 128
; Occupancy: 8
; WaveLimiterHint : 1
; COMPUTE_PGM_RSRC2:SCRATCH_EN: 0
; COMPUTE_PGM_RSRC2:USER_SGPR: 6
; COMPUTE_PGM_RSRC2:TRAP_HANDLER: 0
; COMPUTE_PGM_RSRC2:TGID_X_EN: 1
; COMPUTE_PGM_RSRC2:TGID_Y_EN: 0
; COMPUTE_PGM_RSRC2:TGID_Z_EN: 0
; COMPUTE_PGM_RSRC2:TIDIG_COMP_CNT: 0
	.text
	.p2alignl 6, 3214868480
	.fill 48, 4, 3214868480
	.type	__hip_cuid_5fe1a07910a6cb2c,@object ; @__hip_cuid_5fe1a07910a6cb2c
	.section	.bss,"aw",@nobits
	.globl	__hip_cuid_5fe1a07910a6cb2c
__hip_cuid_5fe1a07910a6cb2c:
	.byte	0                               ; 0x0
	.size	__hip_cuid_5fe1a07910a6cb2c, 1

	.ident	"AMD clang version 19.0.0git (https://github.com/RadeonOpenCompute/llvm-project roc-6.4.0 25133 c7fe45cf4b819c5991fe208aaa96edf142730f1d)"
	.section	".note.GNU-stack","",@progbits
	.addrsig
	.addrsig_sym __hip_cuid_5fe1a07910a6cb2c
	.amdgpu_metadata
---
amdhsa.kernels:
  - .args:
      - .actual_access:  read_only
        .address_space:  global
        .offset:         0
        .size:           8
        .value_kind:     global_buffer
      - .offset:         8
        .size:           8
        .value_kind:     by_value
      - .actual_access:  read_only
        .address_space:  global
        .offset:         16
        .size:           8
        .value_kind:     global_buffer
      - .actual_access:  read_only
        .address_space:  global
        .offset:         24
        .size:           8
        .value_kind:     global_buffer
      - .offset:         32
        .size:           8
        .value_kind:     by_value
      - .actual_access:  read_only
        .address_space:  global
        .offset:         40
        .size:           8
        .value_kind:     global_buffer
      - .actual_access:  read_only
        .address_space:  global
        .offset:         48
        .size:           8
        .value_kind:     global_buffer
      - .offset:         56
        .size:           4
        .value_kind:     by_value
      - .actual_access:  read_only
        .address_space:  global
        .offset:         64
        .size:           8
        .value_kind:     global_buffer
      - .actual_access:  read_only
        .address_space:  global
        .offset:         72
        .size:           8
        .value_kind:     global_buffer
      - .address_space:  global
        .offset:         80
        .size:           8
        .value_kind:     global_buffer
    .group_segment_fixed_size: 0
    .kernarg_segment_align: 8
    .kernarg_segment_size: 88
    .language:       OpenCL C
    .language_version:
      - 2
      - 0
    .max_flat_workgroup_size: 231
    .name:           fft_rtc_fwd_len462_factors_11_6_7_wgs_231_tpt_77_dp_ip_CI_unitstride_sbrr_C2R_dirReg
    .private_segment_fixed_size: 0
    .sgpr_count:     38
    .sgpr_spill_count: 0
    .symbol:         fft_rtc_fwd_len462_factors_11_6_7_wgs_231_tpt_77_dp_ip_CI_unitstride_sbrr_C2R_dirReg.kd
    .uniform_work_group_size: 1
    .uses_dynamic_stack: false
    .vgpr_count:     128
    .vgpr_spill_count: 0
    .wavefront_size: 32
    .workgroup_processor_mode: 1
amdhsa.target:   amdgcn-amd-amdhsa--gfx1030
amdhsa.version:
  - 1
  - 2
...

	.end_amdgpu_metadata
